;; amdgpu-corpus repo=ROCm/rocFFT kind=compiled arch=gfx950 opt=O3
	.text
	.amdgcn_target "amdgcn-amd-amdhsa--gfx950"
	.amdhsa_code_object_version 6
	.protected	fft_rtc_fwd_len125_factors_5_5_5_wgs_250_tpt_25_sp_op_CI_CI_sbrc_z_xy_unaligned ; -- Begin function fft_rtc_fwd_len125_factors_5_5_5_wgs_250_tpt_25_sp_op_CI_CI_sbrc_z_xy_unaligned
	.globl	fft_rtc_fwd_len125_factors_5_5_5_wgs_250_tpt_25_sp_op_CI_CI_sbrc_z_xy_unaligned
	.p2align	8
	.type	fft_rtc_fwd_len125_factors_5_5_5_wgs_250_tpt_25_sp_op_CI_CI_sbrc_z_xy_unaligned,@function
fft_rtc_fwd_len125_factors_5_5_5_wgs_250_tpt_25_sp_op_CI_CI_sbrc_z_xy_unaligned: ; @fft_rtc_fwd_len125_factors_5_5_5_wgs_250_tpt_25_sp_op_CI_CI_sbrc_z_xy_unaligned
; %bb.0:
	s_load_dwordx8 s[4:11], s[0:1], 0x0
	s_waitcnt lgkmcnt(0)
	s_load_dwordx4 s[12:15], s[8:9], 0x8
	s_waitcnt lgkmcnt(0)
	s_add_i32 s3, s12, -1
	s_mul_hi_u32 s3, s3, 0xcccccccd
	s_lshr_b32 s3, s3, 3
	s_add_i32 s8, s3, 1
	s_mul_i32 s9, s8, s14
	v_cvt_f32_u32_e32 v2, s9
	v_cvt_f32_u32_e32 v1, s8
	s_sub_i32 s13, 0, s9
	s_load_dwordx2 s[14:15], s[0:1], 0x20
	s_load_dwordx4 s[16:19], s[10:11], 0x0
	v_rcp_iflag_f32_e32 v2, v2
	v_rcp_iflag_f32_e32 v1, v1
	s_load_dword s20, s[10:11], 0x10
	v_mul_f32_e32 v2, 0x4f7ffffe, v2
	v_cvt_u32_f32_e32 v2, v2
	v_mul_f32_e32 v1, 0x4f7ffffe, v1
	v_cvt_u32_f32_e32 v1, v1
	v_readfirstlane_b32 s21, v2
	s_mul_i32 s13, s13, s21
	s_mul_hi_u32 s13, s21, s13
	s_add_i32 s21, s21, s13
	s_mul_hi_u32 s13, s2, s21
	s_mul_i32 s21, s13, s9
	s_sub_i32 s21, s2, s21
	s_add_i32 s22, s13, 1
	s_sub_i32 s23, s21, s9
	s_cmp_ge_u32 s21, s9
	s_cselect_b32 s13, s22, s13
	s_cselect_b32 s21, s23, s21
	s_add_i32 s22, s13, 1
	s_cmp_ge_u32 s21, s9
	s_waitcnt lgkmcnt(0)
	v_readfirstlane_b32 s19, v1
	s_cselect_b32 s13, s22, s13
	s_not_b32 s3, s3
	s_mul_i32 s3, s3, s19
	s_mul_i32 s9, s13, s9
	s_mul_hi_u32 s3, s19, s3
	s_sub_i32 s9, s2, s9
	s_add_i32 s3, s19, s3
	s_mul_hi_u32 s19, s9, s3
	s_mul_i32 s21, s19, s8
	s_sub_i32 s9, s9, s21
	s_add_i32 s22, s19, 1
	s_sub_i32 s21, s9, s8
	s_cmp_ge_u32 s9, s8
	s_cselect_b32 s19, s22, s19
	s_cselect_b32 s9, s21, s9
	s_add_i32 s21, s19, 1
	s_mul_hi_u32 s3, s2, s3
	s_cmp_ge_u32 s9, s8
	s_mul_i32 s3, s3, s8
	s_cselect_b32 s19, s21, s19
	s_sub_i32 s3, s2, s3
	s_sub_i32 s9, s3, s8
	s_cmp_ge_u32 s3, s8
	s_cselect_b32 s3, s9, s3
	s_sub_i32 s9, s3, s8
	s_cmp_ge_u32 s3, s8
	s_cselect_b32 s3, s9, s3
	s_mul_i32 s33, s3, 10
	s_mul_i32 s8, s19, s20
	;; [unrolled: 1-line block ×3, first 2 shown]
	s_add_i32 s28, s9, s8
	s_lshl_b64 s[20:21], s[6:7], 3
	s_add_u32 s24, s10, s20
	s_addc_u32 s25, s11, s21
	s_load_dwordx2 s[26:27], s[24:25], 0x0
	s_load_dwordx2 s[22:23], s[0:1], 0x58
	s_load_dwordx4 s[8:11], s[14:15], 0x0
	s_load_dwordx2 s[6:7], s[14:15], 0x10
	v_mul_u32_u24_e32 v1, 0x20d, v0
	s_waitcnt lgkmcnt(0)
	s_mul_i32 s7, s27, s13
	s_mul_hi_u32 s11, s26, s13
	s_add_i32 s11, s11, s7
	s_mul_i32 s7, s26, s13
	s_add_u32 s24, s7, s28
	s_addc_u32 s25, s11, 0
	s_add_u32 s14, s14, s20
	s_addc_u32 s15, s15, s21
	s_load_dwordx2 s[14:15], s[14:15], 0x0
	s_add_i32 s7, s33, 10
	s_cmp_le_u32 s7, s12
	v_lshrrev_b32_e32 v2, 16, v1
	s_cselect_b64 s[20:21], -1, 0
	v_mul_lo_u16_e32 v1, 0x7d, v2
	v_sub_u16_e32 v3, v0, v1
	s_mov_b64 s[26:27], -1
	s_and_b64 vcc, exec, s[20:21]
	s_cbranch_vccnz .LBB0_14
; %bb.1:
	v_add_u32_e32 v1, s33, v2
	v_cmp_gt_u32_e32 vcc, s12, v1
	s_and_saveexec_b64 s[26:27], vcc
	s_cbranch_execz .LBB0_13
; %bb.2:
	v_mad_u64_u32 v[4:5], s[28:29], s16, v3, 0
	v_mov_b32_e32 v6, v5
	v_mad_u64_u32 v[6:7], s[28:29], s17, v3, v[6:7]
	s_lshl_b64 s[28:29], s[24:25], 3
	s_add_u32 s28, s22, s28
	s_addc_u32 s29, s23, s29
	s_mul_i32 s7, s2, 10
	s_sub_i32 s2, s2, s3
	v_add_u32_e32 v1, s7, v2
	s_mul_i32 s2, s2, 10
	v_subrev_u32_e32 v1, s2, v1
	v_add_u32_e32 v1, 2, v1
	v_mov_b32_e32 v5, v6
	v_max_u32_e32 v1, s12, v1
	v_not_b32_e32 v6, v2
	v_add3_u32 v1, v1, s2, v6
	v_subrev_u32_e32 v6, s7, v1
	s_movk_i32 s2, 0x65
	v_lshl_add_u64 v[4:5], v[4:5], 3, s[28:29]
	v_cmp_lt_u32_e32 vcc, s2, v6
	s_mov_b64 s[2:3], 0
                                        ; implicit-def: $vgpr1
                                        ; implicit-def: $vgpr7
                                        ; implicit-def: $sgpr7
	s_and_saveexec_b64 s[28:29], vcc
	s_xor_b64 s[28:29], exec, s[28:29]
	s_cbranch_execnz .LBB0_5
; %bb.3:
	s_or_saveexec_b64 s[28:29], s[28:29]
	v_mov_b32_e32 v8, s7
	s_xor_b64 exec, exec, s[28:29]
	s_cbranch_execnz .LBB0_10
.LBB0_4:
	s_or_b64 exec, exec, s[28:29]
	s_and_b64 exec, exec, s[2:3]
	s_cbranch_execnz .LBB0_11
	s_branch .LBB0_13
.LBB0_5:
	v_mul_u32_u24_e32 v1, 0x3e8, v2
	v_lshlrev_b32_e32 v7, 3, v3
	v_lshrrev_b32_e32 v6, 1, v6
	v_add3_u32 v8, 0, v1, v7
	s_movk_i32 s2, 0x7d0
	v_mul_hi_u32 v1, v6, s2
	v_mad_u64_u32 v[10:11], s[2:3], v6, s2, v[8:9]
	v_cmp_ne_u32_e32 vcc, 0, v1
	v_cmp_lt_u32_e64 s[2:3], v10, v8
	v_add_u32_e32 v1, 4, v8
	v_add_u32_e32 v8, 4, v10
	s_or_b64 s[30:31], s[2:3], vcc
	v_cmp_lt_u32_e64 s[2:3], v8, v1
	s_lshl_b32 s7, s18, 1
	s_or_b64 s[36:37], s[2:3], vcc
	s_sub_i32 s35, 0, s7
	s_cmp_gt_i32 s7, -1
	s_cselect_b64 s[2:3], -1, 0
	v_cndmask_b32_e64 v8, 0, -1, s[2:3]
	s_and_b64 s[2:3], s[2:3], exec
	s_cselect_b32 s2, s7, s35
	v_mul_lo_u32 v1, v2, s18
	v_mul_hi_u32 v9, s2, v6
	v_cmp_ne_u32_e32 vcc, 0, v9
	v_mul_lo_u32 v9, s2, v6
	v_xor_b32_e32 v1, v1, v8
	v_cmp_gt_u32_e64 s[2:3], v9, v1
	s_or_b64 s[2:3], s[2:3], vcc
	s_or_b64 s[30:31], s[30:31], s[36:37]
	s_or_b64 s[2:3], s[30:31], s[2:3]
	s_movk_i32 s11, 0x3e8
	s_mov_b32 s34, 0
	s_mov_b64 s[30:31], -1
	s_xor_b64 s[36:37], s[2:3], -1
	v_mov_b32_e32 v1, 0
	s_and_saveexec_b64 s[2:3], s[36:37]
	s_cbranch_execz .LBB0_9
; %bb.6:
	v_add_u32_e32 v10, 1, v6
	v_and_b32_e32 v11, -2, v10
	v_lshl_add_u32 v6, v3, 3, 0
	v_mov_b32_e32 v1, v2
	s_mov_b32 s35, s18
	s_mov_b32 s36, 2
	s_mov_b64 s[30:31], 0
	v_mov_b32_e32 v9, 0
	v_mov_b32_e32 v12, v11
.LBB0_7:                                ; =>This Inner Loop Header: Depth=1
	v_add_u32_e32 v13, s34, v2
	v_add_u32_e32 v22, s36, v1
	v_mul_lo_u32 v8, v13, s18
	v_mov_b32_e32 v15, v9
	v_mul_lo_u32 v14, v22, s35
	v_lshl_add_u64 v[16:17], v[8:9], 3, v[4:5]
	v_lshl_add_u64 v[14:15], v[14:15], 3, v[4:5]
	global_load_dwordx2 v[18:19], v[16:17], off
	global_load_dwordx2 v[20:21], v[14:15], off
	v_add_u32_e32 v12, -2, v12
	s_add_i32 s34, s34, 4
	s_add_i32 s36, s36, 4
	v_cmp_eq_u32_e32 vcc, 0, v12
	v_mad_u64_u32 v[14:15], s[38:39], v13, s11, v[6:7]
	s_or_b64 s[30:31], vcc, s[30:31]
	v_mad_u64_u32 v[16:17], s[38:39], v22, s11, v[6:7]
	s_waitcnt vmcnt(1)
	ds_write_b32 v14, v18
	s_waitcnt vmcnt(0)
	ds_write_b32 v16, v20
	ds_write_b32 v14, v19 offset:4
	ds_write_b32 v16, v21 offset:4
	s_andn2_b64 exec, exec, s[30:31]
	s_cbranch_execnz .LBB0_7
; %bb.8:
	s_or_b64 exec, exec, s[30:31]
	v_cmp_ne_u32_e32 vcc, v10, v11
	v_lshlrev_b32_e32 v1, 1, v11
	s_orn2_b64 s[30:31], vcc, exec
.LBB0_9:
	s_or_b64 exec, exec, s[2:3]
	s_and_b64 s[2:3], s[30:31], exec
	s_or_saveexec_b64 s[28:29], s[28:29]
	v_mov_b32_e32 v8, s7
	s_xor_b64 exec, exec, s[28:29]
	s_cbranch_execz .LBB0_4
.LBB0_10:
	s_lshl_b32 s7, s18, 1
	v_lshlrev_b32_e32 v7, 3, v3
	v_mov_b32_e32 v1, 0
	v_mov_b32_e32 v8, s7
	s_or_b64 s[2:3], s[2:3], exec
	s_or_b64 exec, exec, s[28:29]
	s_and_b64 exec, exec, s[2:3]
	s_cbranch_execz .LBB0_13
.LBB0_11:
	v_add_u32_e32 v9, v1, v2
	s_movk_i32 s2, 0x3e8
	v_mul_lo_u32 v1, v9, s2
	v_add3_u32 v1, v1, v7, 0
	v_mul_lo_u32 v6, v9, s18
	v_add_u32_e32 v9, s33, v9
	s_mov_b64 s[2:3], 0
	v_mov_b32_e32 v7, 0
.LBB0_12:                               ; =>This Inner Loop Header: Depth=1
	v_lshl_add_u64 v[10:11], v[6:7], 3, v[4:5]
	global_load_dwordx2 v[10:11], v[10:11], off
	v_add_u32_e32 v9, 2, v9
	v_cmp_le_u32_e32 vcc, s12, v9
	v_add_u32_e32 v6, v6, v8
	s_or_b64 s[2:3], vcc, s[2:3]
	s_waitcnt vmcnt(0)
	ds_write_b64 v1, v[10:11]
	v_add_u32_e32 v1, 0x7d0, v1
	s_andn2_b64 exec, exec, s[2:3]
	s_cbranch_execnz .LBB0_12
.LBB0_13:
	s_or_b64 exec, exec, s[26:27]
	s_mov_b64 s[26:27], 0
.LBB0_14:
	s_andn2_b64 vcc, exec, s[26:27]
	s_cbranch_vccnz .LBB0_16
; %bb.15:
	v_mad_u64_u32 v[4:5], s[2:3], s16, v3, 0
	v_mov_b32_e32 v6, v5
	v_mad_u64_u32 v[6:7], s[2:3], s17, v3, v[6:7]
	s_lshl_b64 s[2:3], s[24:25], 3
	s_add_u32 s2, s22, s2
	v_mov_b32_e32 v5, v6
	s_addc_u32 s3, s23, s3
	v_mul_lo_u32 v6, s18, v2
	v_mov_b32_e32 v7, 0
	v_lshl_add_u64 v[4:5], v[4:5], 3, s[2:3]
	s_lshl_b32 s2, s18, 1
	v_lshl_add_u64 v[8:9], v[6:7], 3, v[4:5]
	v_add_u32_e32 v6, s2, v6
	v_lshl_add_u64 v[10:11], v[6:7], 3, v[4:5]
	v_add_u32_e32 v6, s2, v6
	;; [unrolled: 2-line block ×4, first 2 shown]
	global_load_dwordx2 v[16:17], v[8:9], off
	global_load_dwordx2 v[18:19], v[10:11], off
	;; [unrolled: 1-line block ×4, first 2 shown]
	v_lshl_add_u64 v[4:5], v[6:7], 3, v[4:5]
	global_load_dwordx2 v[4:5], v[4:5], off
	v_mul_u32_u24_e32 v1, 0x3e8, v2
	v_lshlrev_b32_e32 v2, 3, v3
	v_add3_u32 v1, 0, v1, v2
	v_add_u32_e32 v2, 0xf80, v1
	s_waitcnt vmcnt(3)
	ds_write2_b64 v1, v[16:17], v[18:19] offset1:250
	s_waitcnt vmcnt(1)
	ds_write2_b64 v2, v[20:21], v[22:23] offset0:4 offset1:254
	s_waitcnt vmcnt(0)
	ds_write_b64 v1, v[4:5] offset:8000
.LBB0_16:
	s_movk_i32 s2, 0xa3e
	v_mul_u32_u24_sdwa v1, v0, s2 dst_sel:DWORD dst_unused:UNUSED_PAD src0_sel:WORD_0 src1_sel:DWORD
	v_add_u32_sdwa v1, s33, v1 dst_sel:DWORD dst_unused:UNUSED_PAD src0_sel:DWORD src1_sel:WORD_1
	s_mov_b32 s2, 0xcccccccd
	v_mul_hi_u32 v2, v1, s2
	v_lshrrev_b32_e32 v2, 3, v2
	v_mul_lo_u32 v2, v2, 10
	s_mov_b32 s2, 0xa3d70a4
	v_sub_u32_e32 v1, v1, v2
	v_mul_hi_u32 v2, v0, s2
	v_mul_u32_u24_e32 v2, 25, v2
	v_mul_u32_u24_e32 v1, 0x7d, v1
	v_sub_u32_e32 v28, v0, v2
	v_lshlrev_b32_e32 v1, 3, v1
	v_lshlrev_b32_e32 v2, 3, v28
	v_add3_u32 v30, 0, v1, v2
	s_waitcnt lgkmcnt(0)
	s_barrier
	v_add3_u32 v31, 0, v2, v1
	ds_read_b64 v[10:11], v30
	ds_read2_b64 v[2:5], v31 offset0:25 offset1:50
	ds_read2_b64 v[6:9], v31 offset0:75 offset1:100
	s_mov_b32 s16, 0x3f737871
	s_mov_b32 s18, 0x3f167918
	v_lshlrev_b32_e32 v32, 5, v28
	s_waitcnt lgkmcnt(1)
	v_pk_add_f32 v[24:25], v[2:3], v[4:5] neg_lo:[0,1] neg_hi:[0,1]
	s_waitcnt lgkmcnt(0)
	v_pk_add_f32 v[14:15], v[4:5], v[6:7]
	v_pk_add_f32 v[16:17], v[2:3], v[8:9] neg_lo:[0,1] neg_hi:[0,1]
	v_pk_fma_f32 v[14:15], v[14:15], 0.5, v[10:11] op_sel_hi:[1,0,1] neg_lo:[1,0,0] neg_hi:[1,0,0]
	v_pk_mul_f32 v[18:19], v[16:17], s[16:17] op_sel_hi:[1,0]
	v_pk_add_f32 v[20:21], v[4:5], v[6:7] neg_lo:[0,1] neg_hi:[0,1]
	v_pk_add_f32 v[26:27], v[8:9], v[6:7] neg_lo:[0,1] neg_hi:[0,1]
	v_pk_add_f32 v[12:13], v[10:11], v[2:3]
	v_pk_mul_f32 v[22:23], v[20:21], s[18:19] op_sel_hi:[1,0]
	v_pk_add_f32 v[24:25], v[24:25], v[26:27]
	v_pk_add_f32 v[26:27], v[14:15], v[18:19] op_sel:[0,1] op_sel_hi:[1,0]
	v_pk_add_f32 v[14:15], v[14:15], v[18:19] op_sel:[0,1] op_sel_hi:[1,0] neg_lo:[0,1] neg_hi:[0,1]
	v_pk_add_f32 v[12:13], v[12:13], v[4:5]
	v_pk_add_f32 v[14:15], v[14:15], v[22:23] op_sel:[0,1] op_sel_hi:[1,0] neg_lo:[0,1] neg_hi:[0,1]
	v_pk_add_f32 v[18:19], v[26:27], v[22:23] op_sel:[0,1] op_sel_hi:[1,0]
	v_pk_add_f32 v[12:13], v[12:13], v[6:7]
	s_mov_b32 s2, 0x3e9e377a
	v_mov_b32_e32 v22, v18
	v_mov_b32_e32 v23, v15
	v_add_u32_e32 v29, v31, v32
	v_pk_add_f32 v[12:13], v[12:13], v[8:9]
	v_pk_fma_f32 v[22:23], v[24:25], s[2:3], v[22:23] op_sel_hi:[1,0,1]
	s_barrier
	ds_write2_b64 v29, v[12:13], v[22:23] offset1:1
	v_pk_add_f32 v[12:13], v[2:3], v[8:9]
	v_pk_add_f32 v[2:3], v[4:5], v[2:3] neg_lo:[0,1] neg_hi:[0,1]
	v_pk_add_f32 v[4:5], v[6:7], v[8:9] neg_lo:[0,1] neg_hi:[0,1]
	v_pk_fma_f32 v[10:11], v[12:13], 0.5, v[10:11] op_sel_hi:[1,0,1] neg_lo:[1,0,0] neg_hi:[1,0,0]
	v_pk_add_f32 v[2:3], v[2:3], v[4:5]
	v_pk_mul_f32 v[4:5], v[20:21], s[16:17] op_sel_hi:[1,0]
	v_pk_mul_f32 v[6:7], v[16:17], s[18:19] op_sel_hi:[1,0]
	v_pk_add_f32 v[8:9], v[10:11], v[4:5] op_sel:[0,1] op_sel_hi:[1,0] neg_lo:[0,1] neg_hi:[0,1]
	v_pk_add_f32 v[4:5], v[10:11], v[4:5] op_sel:[0,1] op_sel_hi:[1,0]
	v_mov_b32_e32 v15, v19
	v_pk_add_f32 v[4:5], v[4:5], v[6:7] op_sel:[0,1] op_sel_hi:[1,0] neg_lo:[0,1] neg_hi:[0,1]
	v_pk_add_f32 v[6:7], v[8:9], v[6:7] op_sel:[0,1] op_sel_hi:[1,0]
	v_mov_b32_e32 v9, v5
	v_mov_b32_e32 v8, v6
	;; [unrolled: 1-line block ×3, first 2 shown]
	v_pk_fma_f32 v[8:9], v[2:3], s[2:3], v[8:9] op_sel_hi:[1,0,1]
	v_pk_fma_f32 v[2:3], v[2:3], s[2:3], v[4:5] op_sel_hi:[1,0,1]
	ds_write2_b64 v29, v[8:9], v[2:3] offset0:2 offset1:3
	v_pk_fma_f32 v[2:3], v[24:25], s[2:3], v[14:15] op_sel_hi:[1,0,1]
	ds_write_b64 v29, v[2:3] offset:32
	v_mul_lo_u16_e32 v2, 52, v28
	v_lshrrev_b16_e32 v10, 8, v2
	v_mul_lo_u16_e32 v2, 5, v10
	v_sub_u16_e32 v14, v28, v2
	v_mov_b32_e32 v2, 5
	v_lshlrev_b32_sdwa v11, v2, v14 dst_sel:DWORD dst_unused:UNUSED_PAD src0_sel:DWORD src1_sel:BYTE_0
	s_waitcnt lgkmcnt(0)
	s_barrier
	global_load_dwordx4 v[2:5], v11, s[4:5]
	global_load_dwordx4 v[6:9], v11, s[4:5] offset:16
	s_movk_i32 s3, 0xc8
	v_mov_b32_e32 v15, 3
	v_mad_u32_u24 v18, v10, s3, 0
	ds_read2_b64 v[10:13], v31 offset0:25 offset1:50
	v_lshlrev_b32_sdwa v19, v15, v14 dst_sel:DWORD dst_unused:UNUSED_PAD src0_sel:DWORD src1_sel:BYTE_0
	ds_read2_b64 v[14:17], v31 offset0:75 offset1:100
	v_add3_u32 v1, v18, v19, v1
	ds_read2_b32 v[18:19], v30 offset1:1
	s_waitcnt lgkmcnt(0)
	s_barrier
	s_waitcnt vmcnt(1)
	v_pk_mul_f32 v[20:21], v[2:3], v[10:11] op_sel:[0,1]
	v_pk_mul_f32 v[22:23], v[4:5], v[12:13] op_sel:[0,1]
	s_waitcnt vmcnt(0)
	v_pk_mul_f32 v[24:25], v[6:7], v[14:15] op_sel:[0,1]
	v_pk_mul_f32 v[26:27], v[8:9], v[16:17] op_sel:[0,1]
	v_pk_fma_f32 v[28:29], v[2:3], v[10:11], v[20:21] op_sel:[0,0,1] op_sel_hi:[1,1,0] neg_lo:[0,0,1] neg_hi:[0,0,1]
	v_pk_fma_f32 v[2:3], v[2:3], v[10:11], v[20:21] op_sel:[0,0,1] op_sel_hi:[1,0,0]
	v_pk_fma_f32 v[10:11], v[4:5], v[12:13], v[22:23] op_sel:[0,0,1] op_sel_hi:[1,1,0] neg_lo:[0,0,1] neg_hi:[0,0,1]
	v_pk_fma_f32 v[4:5], v[4:5], v[12:13], v[22:23] op_sel:[0,0,1] op_sel_hi:[1,0,0]
	;; [unrolled: 2-line block ×3, first 2 shown]
	v_mov_b32_e32 v29, v3
	v_mov_b32_e32 v11, v5
	v_pk_fma_f32 v[2:3], v[8:9], v[16:17], v[26:27] op_sel:[0,0,1] op_sel_hi:[1,1,0] neg_lo:[0,0,1] neg_hi:[0,0,1]
	v_pk_fma_f32 v[4:5], v[8:9], v[16:17], v[26:27] op_sel:[0,0,1] op_sel_hi:[1,0,0]
	v_mov_b32_e32 v13, v7
	v_mov_b32_e32 v3, v5
	v_pk_add_f32 v[6:7], v[10:11], v[12:13]
	v_pk_add_f32 v[8:9], v[28:29], v[2:3] neg_lo:[0,1] neg_hi:[0,1]
	v_pk_fma_f32 v[6:7], v[6:7], 0.5, v[18:19] op_sel_hi:[1,0,1] neg_lo:[1,0,0] neg_hi:[1,0,0]
	v_pk_mul_f32 v[14:15], v[8:9], s[16:17] op_sel_hi:[1,0]
	v_pk_add_f32 v[16:17], v[10:11], v[12:13] neg_lo:[0,1] neg_hi:[0,1]
	v_pk_add_f32 v[22:23], v[28:29], v[10:11] neg_lo:[0,1] neg_hi:[0,1]
	;; [unrolled: 1-line block ×3, first 2 shown]
	v_pk_add_f32 v[4:5], v[28:29], v[18:19]
	v_pk_mul_f32 v[20:21], v[16:17], s[18:19] op_sel_hi:[1,0]
	v_pk_add_f32 v[22:23], v[22:23], v[24:25]
	v_pk_add_f32 v[24:25], v[6:7], v[14:15] op_sel:[0,1] op_sel_hi:[1,0]
	v_pk_add_f32 v[6:7], v[6:7], v[14:15] op_sel:[0,1] op_sel_hi:[1,0] neg_lo:[0,1] neg_hi:[0,1]
	v_pk_add_f32 v[4:5], v[4:5], v[10:11]
	v_pk_add_f32 v[6:7], v[6:7], v[20:21] op_sel:[0,1] op_sel_hi:[1,0] neg_lo:[0,1] neg_hi:[0,1]
	v_pk_add_f32 v[14:15], v[24:25], v[20:21] op_sel:[0,1] op_sel_hi:[1,0]
	v_pk_add_f32 v[4:5], v[4:5], v[12:13]
	v_mov_b32_e32 v20, v14
	v_mov_b32_e32 v21, v7
	v_pk_add_f32 v[4:5], v[4:5], v[2:3]
	v_pk_fma_f32 v[20:21], v[22:23], s[2:3], v[20:21] op_sel_hi:[1,0,1]
	ds_write2_b64 v1, v[4:5], v[20:21] offset1:5
	v_pk_add_f32 v[4:5], v[28:29], v[2:3]
	v_pk_add_f32 v[10:11], v[10:11], v[28:29] neg_lo:[0,1] neg_hi:[0,1]
	v_pk_add_f32 v[2:3], v[12:13], v[2:3] neg_lo:[0,1] neg_hi:[0,1]
	v_pk_fma_f32 v[4:5], v[4:5], 0.5, v[18:19] op_sel_hi:[1,0,1] neg_lo:[1,0,0] neg_hi:[1,0,0]
	v_pk_add_f32 v[2:3], v[10:11], v[2:3]
	v_pk_mul_f32 v[10:11], v[16:17], s[16:17] op_sel_hi:[1,0]
	v_pk_mul_f32 v[8:9], v[8:9], s[18:19] op_sel_hi:[1,0]
	v_pk_add_f32 v[12:13], v[4:5], v[10:11] op_sel:[0,1] op_sel_hi:[1,0] neg_lo:[0,1] neg_hi:[0,1]
	v_pk_add_f32 v[4:5], v[4:5], v[10:11] op_sel:[0,1] op_sel_hi:[1,0]
	v_mov_b32_e32 v7, v15
	v_pk_add_f32 v[4:5], v[4:5], v[8:9] op_sel:[0,1] op_sel_hi:[1,0] neg_lo:[0,1] neg_hi:[0,1]
	v_pk_add_f32 v[8:9], v[12:13], v[8:9] op_sel:[0,1] op_sel_hi:[1,0]
	v_mov_b32_e32 v11, v5
	v_mov_b32_e32 v10, v8
	;; [unrolled: 1-line block ×3, first 2 shown]
	v_pk_fma_f32 v[10:11], v[2:3], s[2:3], v[10:11] op_sel_hi:[1,0,1]
	v_pk_fma_f32 v[2:3], v[2:3], s[2:3], v[4:5] op_sel_hi:[1,0,1]
	ds_write2_b64 v1, v[10:11], v[2:3] offset0:10 offset1:15
	v_pk_fma_f32 v[2:3], v[22:23], s[2:3], v[6:7] op_sel_hi:[1,0,1]
	ds_write_b64 v1, v[2:3] offset:160
	s_waitcnt lgkmcnt(0)
	s_barrier
	global_load_dwordx4 v[2:5], v32, s[4:5] offset:160
	global_load_dwordx4 v[6:9], v32, s[4:5] offset:176
	ds_read2_b32 v[18:19], v30 offset1:1
	ds_read2_b64 v[10:13], v31 offset0:25 offset1:50
	ds_read2_b64 v[14:17], v31 offset0:75 offset1:100
	s_mov_b32 s3, 0
	s_waitcnt lgkmcnt(0)
	s_barrier
	s_waitcnt vmcnt(1)
	v_pk_mul_f32 v[20:21], v[2:3], v[10:11] op_sel:[0,1]
	v_pk_mul_f32 v[22:23], v[4:5], v[12:13] op_sel:[0,1]
	s_waitcnt vmcnt(0)
	v_pk_mul_f32 v[24:25], v[6:7], v[14:15] op_sel:[0,1]
	v_pk_mul_f32 v[26:27], v[8:9], v[16:17] op_sel:[0,1]
	v_pk_fma_f32 v[28:29], v[2:3], v[10:11], v[20:21] op_sel:[0,0,1] op_sel_hi:[1,1,0] neg_lo:[0,0,1] neg_hi:[0,0,1]
	v_pk_fma_f32 v[2:3], v[2:3], v[10:11], v[20:21] op_sel:[0,0,1] op_sel_hi:[1,0,0]
	v_pk_fma_f32 v[10:11], v[4:5], v[12:13], v[22:23] op_sel:[0,0,1] op_sel_hi:[1,1,0] neg_lo:[0,0,1] neg_hi:[0,0,1]
	v_pk_fma_f32 v[4:5], v[4:5], v[12:13], v[22:23] op_sel:[0,0,1] op_sel_hi:[1,0,0]
	;; [unrolled: 2-line block ×4, first 2 shown]
	v_mov_b32_e32 v29, v3
	v_mov_b32_e32 v11, v5
	v_mov_b32_e32 v13, v7
	v_mov_b32_e32 v15, v9
	v_pk_add_f32 v[4:5], v[10:11], v[12:13]
	v_pk_add_f32 v[6:7], v[28:29], v[14:15] neg_lo:[0,1] neg_hi:[0,1]
	v_pk_add_f32 v[8:9], v[10:11], v[12:13] neg_lo:[0,1] neg_hi:[0,1]
	;; [unrolled: 1-line block ×4, first 2 shown]
	v_pk_fma_f32 v[4:5], v[4:5], 0.5, v[18:19] op_sel_hi:[1,0,1] neg_lo:[1,0,0] neg_hi:[1,0,0]
	v_pk_mul_f32 v[22:23], v[6:7], s[16:17] op_sel_hi:[1,0]
	v_pk_add_f32 v[2:3], v[28:29], v[18:19]
	v_pk_mul_f32 v[24:25], v[8:9], s[18:19] op_sel_hi:[1,0]
	v_pk_add_f32 v[16:17], v[16:17], v[20:21]
	v_pk_add_f32 v[20:21], v[4:5], v[22:23] op_sel:[0,1] op_sel_hi:[1,0]
	v_pk_add_f32 v[4:5], v[4:5], v[22:23] op_sel:[0,1] op_sel_hi:[1,0] neg_lo:[0,1] neg_hi:[0,1]
	v_pk_add_f32 v[2:3], v[2:3], v[10:11]
	v_pk_add_f32 v[4:5], v[4:5], v[24:25] op_sel:[0,1] op_sel_hi:[1,0] neg_lo:[0,1] neg_hi:[0,1]
	v_pk_add_f32 v[20:21], v[20:21], v[24:25] op_sel:[0,1] op_sel_hi:[1,0]
	v_pk_add_f32 v[2:3], v[2:3], v[12:13]
	v_mov_b32_e32 v22, v20
	v_mov_b32_e32 v23, v5
	v_pk_add_f32 v[2:3], v[2:3], v[14:15]
	v_pk_fma_f32 v[22:23], v[16:17], s[2:3], v[22:23] op_sel_hi:[1,0,1]
	ds_write2_b64 v31, v[2:3], v[22:23] offset1:25
	v_pk_add_f32 v[2:3], v[28:29], v[14:15]
	v_pk_add_f32 v[10:11], v[10:11], v[28:29] neg_lo:[0,1] neg_hi:[0,1]
	v_pk_fma_f32 v[2:3], v[2:3], 0.5, v[18:19] op_sel_hi:[1,0,1] neg_lo:[1,0,0] neg_hi:[1,0,0]
	v_pk_add_f32 v[12:13], v[12:13], v[14:15] neg_lo:[0,1] neg_hi:[0,1]
	v_pk_mul_f32 v[8:9], v[8:9], s[16:17] op_sel_hi:[1,0]
	v_pk_add_f32 v[10:11], v[10:11], v[12:13]
	v_pk_mul_f32 v[6:7], v[6:7], s[18:19] op_sel_hi:[1,0]
	v_pk_add_f32 v[12:13], v[2:3], v[8:9] op_sel:[0,1] op_sel_hi:[1,0] neg_lo:[0,1] neg_hi:[0,1]
	v_pk_add_f32 v[2:3], v[2:3], v[8:9] op_sel:[0,1] op_sel_hi:[1,0]
	v_mov_b32_e32 v5, v21
	v_pk_add_f32 v[2:3], v[2:3], v[6:7] op_sel:[0,1] op_sel_hi:[1,0] neg_lo:[0,1] neg_hi:[0,1]
	v_pk_add_f32 v[6:7], v[12:13], v[6:7] op_sel:[0,1] op_sel_hi:[1,0]
	v_mov_b32_e32 v9, v3
	v_mov_b32_e32 v8, v6
	;; [unrolled: 1-line block ×3, first 2 shown]
	v_pk_fma_f32 v[8:9], v[10:11], s[2:3], v[8:9] op_sel_hi:[1,0,1]
	v_pk_fma_f32 v[2:3], v[10:11], s[2:3], v[2:3] op_sel_hi:[1,0,1]
	ds_write2_b64 v31, v[8:9], v[2:3] offset0:50 offset1:75
	v_pk_fma_f32 v[2:3], v[16:17], s[2:3], v[4:5] op_sel_hi:[1,0,1]
	s_mov_b32 s2, 0x1999999a
	v_mul_hi_u32 v1, v0, s2
	ds_write_b64 v31, v[2:3] offset:800
	v_mul_u32_u24_e32 v2, 10, v1
	v_sub_u32_e32 v0, v0, v2
	v_add_u32_e32 v2, s33, v0
	v_cmp_gt_u32_e32 vcc, s12, v2
	s_or_b64 s[4:5], s[20:21], vcc
	s_waitcnt lgkmcnt(0)
	s_barrier
	s_and_saveexec_b64 s[16:17], s[4:5]
	s_cbranch_execz .LBB0_18
; %bb.17:
	s_load_dwordx2 s[0:1], s[0:1], 0x60
	s_mul_i32 s4, s9, s33
	s_mul_hi_u32 s5, s8, s33
	s_mul_i32 s2, s19, s10
	s_add_i32 s5, s5, s4
	s_mul_i32 s4, s8, s33
	s_mul_i32 s7, s15, s13
	s_mul_hi_u32 s10, s14, s13
	s_add_i32 s11, s10, s7
	s_mul_i32 s10, s14, s13
	v_mad_u64_u32 v[4:5], s[12:13], s8, v0, 0
	s_lshl_b64 s[4:5], s[4:5], 3
	v_mov_b32_e32 v2, v5
	s_waitcnt lgkmcnt(0)
	s_add_u32 s4, s0, s4
	v_mad_u64_u32 v[2:3], s[8:9], s9, v0, v[2:3]
	v_mul_lo_u32 v8, v1, s6
	v_mul_i32_i24_e32 v0, 0x3e8, v0
	v_lshlrev_b32_e32 v1, 3, v1
	s_addc_u32 s5, s1, s5
	s_lshl_b64 s[0:1], s[2:3], 3
	v_add3_u32 v12, 0, v0, v1
	s_add_u32 s2, s4, s0
	v_mov_b32_e32 v5, v2
	s_addc_u32 s3, s5, s1
	s_lshl_b64 s[0:1], s[10:11], 3
	ds_read2_b64 v[0:3], v12 offset1:25
	s_add_u32 s0, s2, s0
	s_addc_u32 s1, s3, s1
	v_mov_b32_e32 v9, 0
	v_lshl_add_u64 v[10:11], v[4:5], 3, s[0:1]
	v_lshl_add_u64 v[4:5], v[8:9], 3, v[10:11]
	s_waitcnt lgkmcnt(0)
	global_store_dwordx2 v[4:5], v[0:1], off
	ds_read2_b64 v[4:7], v12 offset0:50 offset1:75
	s_mul_i32 s0, s6, 25
	v_add_u32_e32 v8, s0, v8
	v_lshl_add_u64 v[0:1], v[8:9], 3, v[10:11]
	v_add_u32_e32 v8, s0, v8
	global_store_dwordx2 v[0:1], v[2:3], off
	v_lshl_add_u64 v[0:1], v[8:9], 3, v[10:11]
	s_waitcnt lgkmcnt(0)
	global_store_dwordx2 v[0:1], v[4:5], off
	ds_read_b64 v[0:1], v12 offset:800
	v_add_u32_e32 v8, s0, v8
	v_lshl_add_u64 v[2:3], v[8:9], 3, v[10:11]
	v_add_u32_e32 v8, s0, v8
	global_store_dwordx2 v[2:3], v[6:7], off
	v_lshl_add_u64 v[2:3], v[8:9], 3, v[10:11]
	s_waitcnt lgkmcnt(0)
	global_store_dwordx2 v[2:3], v[0:1], off
.LBB0_18:
	s_endpgm
	.section	.rodata,"a",@progbits
	.p2align	6, 0x0
	.amdhsa_kernel fft_rtc_fwd_len125_factors_5_5_5_wgs_250_tpt_25_sp_op_CI_CI_sbrc_z_xy_unaligned
		.amdhsa_group_segment_fixed_size 0
		.amdhsa_private_segment_fixed_size 0
		.amdhsa_kernarg_size 104
		.amdhsa_user_sgpr_count 2
		.amdhsa_user_sgpr_dispatch_ptr 0
		.amdhsa_user_sgpr_queue_ptr 0
		.amdhsa_user_sgpr_kernarg_segment_ptr 1
		.amdhsa_user_sgpr_dispatch_id 0
		.amdhsa_user_sgpr_kernarg_preload_length 0
		.amdhsa_user_sgpr_kernarg_preload_offset 0
		.amdhsa_user_sgpr_private_segment_size 0
		.amdhsa_uses_dynamic_stack 0
		.amdhsa_enable_private_segment 0
		.amdhsa_system_sgpr_workgroup_id_x 1
		.amdhsa_system_sgpr_workgroup_id_y 0
		.amdhsa_system_sgpr_workgroup_id_z 0
		.amdhsa_system_sgpr_workgroup_info 0
		.amdhsa_system_vgpr_workitem_id 0
		.amdhsa_next_free_vgpr 33
		.amdhsa_next_free_sgpr 40
		.amdhsa_accum_offset 36
		.amdhsa_reserve_vcc 1
		.amdhsa_float_round_mode_32 0
		.amdhsa_float_round_mode_16_64 0
		.amdhsa_float_denorm_mode_32 3
		.amdhsa_float_denorm_mode_16_64 3
		.amdhsa_dx10_clamp 1
		.amdhsa_ieee_mode 1
		.amdhsa_fp16_overflow 0
		.amdhsa_tg_split 0
		.amdhsa_exception_fp_ieee_invalid_op 0
		.amdhsa_exception_fp_denorm_src 0
		.amdhsa_exception_fp_ieee_div_zero 0
		.amdhsa_exception_fp_ieee_overflow 0
		.amdhsa_exception_fp_ieee_underflow 0
		.amdhsa_exception_fp_ieee_inexact 0
		.amdhsa_exception_int_div_zero 0
	.end_amdhsa_kernel
	.text
.Lfunc_end0:
	.size	fft_rtc_fwd_len125_factors_5_5_5_wgs_250_tpt_25_sp_op_CI_CI_sbrc_z_xy_unaligned, .Lfunc_end0-fft_rtc_fwd_len125_factors_5_5_5_wgs_250_tpt_25_sp_op_CI_CI_sbrc_z_xy_unaligned
                                        ; -- End function
	.section	.AMDGPU.csdata,"",@progbits
; Kernel info:
; codeLenInByte = 3240
; NumSgprs: 46
; NumVgprs: 33
; NumAgprs: 0
; TotalNumVgprs: 33
; ScratchSize: 0
; MemoryBound: 0
; FloatMode: 240
; IeeeMode: 1
; LDSByteSize: 0 bytes/workgroup (compile time only)
; SGPRBlocks: 5
; VGPRBlocks: 4
; NumSGPRsForWavesPerEU: 46
; NumVGPRsForWavesPerEU: 33
; AccumOffset: 36
; Occupancy: 8
; WaveLimiterHint : 1
; COMPUTE_PGM_RSRC2:SCRATCH_EN: 0
; COMPUTE_PGM_RSRC2:USER_SGPR: 2
; COMPUTE_PGM_RSRC2:TRAP_HANDLER: 0
; COMPUTE_PGM_RSRC2:TGID_X_EN: 1
; COMPUTE_PGM_RSRC2:TGID_Y_EN: 0
; COMPUTE_PGM_RSRC2:TGID_Z_EN: 0
; COMPUTE_PGM_RSRC2:TIDIG_COMP_CNT: 0
; COMPUTE_PGM_RSRC3_GFX90A:ACCUM_OFFSET: 8
; COMPUTE_PGM_RSRC3_GFX90A:TG_SPLIT: 0
	.text
	.p2alignl 6, 3212836864
	.fill 256, 4, 3212836864
	.type	__hip_cuid_ae931666a390d687,@object ; @__hip_cuid_ae931666a390d687
	.section	.bss,"aw",@nobits
	.globl	__hip_cuid_ae931666a390d687
__hip_cuid_ae931666a390d687:
	.byte	0                               ; 0x0
	.size	__hip_cuid_ae931666a390d687, 1

	.ident	"AMD clang version 19.0.0git (https://github.com/RadeonOpenCompute/llvm-project roc-6.4.0 25133 c7fe45cf4b819c5991fe208aaa96edf142730f1d)"
	.section	".note.GNU-stack","",@progbits
	.addrsig
	.addrsig_sym __hip_cuid_ae931666a390d687
	.amdgpu_metadata
---
amdhsa.kernels:
  - .agpr_count:     0
    .args:
      - .actual_access:  read_only
        .address_space:  global
        .offset:         0
        .size:           8
        .value_kind:     global_buffer
      - .offset:         8
        .size:           8
        .value_kind:     by_value
      - .actual_access:  read_only
        .address_space:  global
        .offset:         16
        .size:           8
        .value_kind:     global_buffer
      - .actual_access:  read_only
        .address_space:  global
        .offset:         24
        .size:           8
        .value_kind:     global_buffer
      - .actual_access:  read_only
        .address_space:  global
        .offset:         32
        .size:           8
        .value_kind:     global_buffer
      - .offset:         40
        .size:           8
        .value_kind:     by_value
      - .actual_access:  read_only
        .address_space:  global
        .offset:         48
        .size:           8
        .value_kind:     global_buffer
      - .actual_access:  read_only
        .address_space:  global
        .offset:         56
        .size:           8
        .value_kind:     global_buffer
      - .offset:         64
        .size:           4
        .value_kind:     by_value
      - .actual_access:  read_only
        .address_space:  global
        .offset:         72
        .size:           8
        .value_kind:     global_buffer
      - .actual_access:  read_only
        .address_space:  global
        .offset:         80
        .size:           8
        .value_kind:     global_buffer
      - .actual_access:  read_only
        .address_space:  global
        .offset:         88
        .size:           8
        .value_kind:     global_buffer
      - .actual_access:  write_only
        .address_space:  global
        .offset:         96
        .size:           8
        .value_kind:     global_buffer
    .group_segment_fixed_size: 0
    .kernarg_segment_align: 8
    .kernarg_segment_size: 104
    .language:       OpenCL C
    .language_version:
      - 2
      - 0
    .max_flat_workgroup_size: 250
    .name:           fft_rtc_fwd_len125_factors_5_5_5_wgs_250_tpt_25_sp_op_CI_CI_sbrc_z_xy_unaligned
    .private_segment_fixed_size: 0
    .sgpr_count:     46
    .sgpr_spill_count: 0
    .symbol:         fft_rtc_fwd_len125_factors_5_5_5_wgs_250_tpt_25_sp_op_CI_CI_sbrc_z_xy_unaligned.kd
    .uniform_work_group_size: 1
    .uses_dynamic_stack: false
    .vgpr_count:     33
    .vgpr_spill_count: 0
    .wavefront_size: 64
amdhsa.target:   amdgcn-amd-amdhsa--gfx950
amdhsa.version:
  - 1
  - 2
...

	.end_amdgpu_metadata
